;; amdgpu-corpus repo=zjin-lcf/HeCBench kind=compiled arch=gfx1250 opt=O3
	.amdgcn_target "amdgcn-amd-amdhsa--gfx1250"
	.amdhsa_code_object_version 6
	.text
	.protected	_Z21binomialOptionsKernelPK13__TOptionDataPf ; -- Begin function _Z21binomialOptionsKernelPK13__TOptionDataPf
	.globl	_Z21binomialOptionsKernelPK13__TOptionDataPf
	.p2align	8
	.type	_Z21binomialOptionsKernelPK13__TOptionDataPf,@function
_Z21binomialOptionsKernelPK13__TOptionDataPf: ; @_Z21binomialOptionsKernelPK13__TOptionDataPf
; %bb.0:
	s_load_b64 s[4:5], s[0:1], 0x0
	s_bfe_u32 s2, ttmp6, 0x4000c
	s_and_b32 s3, ttmp6, 15
	s_add_co_i32 s2, s2, 1
	s_getreg_b32 s6, hwreg(HW_REG_IB_STS2, 6, 4)
	s_mul_i32 s2, ttmp9, s2
	v_cmp_eq_u32_e32 vcc_lo, 0, v0
	s_add_co_i32 s2, s3, s2
	s_cmp_eq_u32 s6, 0
	s_mov_b32 s3, 0
	s_cselect_b32 s2, ttmp9, s2
	s_delay_alu instid0(SALU_CYCLE_1)
	s_mul_u64 s[6:7], s[2:3], 20
	s_wait_kmcnt 0x0
	s_add_nc_u64 s[10:11], s[4:5], s[6:7]
	s_clause 0x1
	s_load_b128 s[4:7], s[10:11], 0x0
	s_load_b32 s9, s[10:11], 0x10
	s_and_saveexec_b32 s8, vcc_lo
	s_cbranch_execz .LBB0_2
; %bb.1:
	s_wait_kmcnt 0x0
	s_mul_f32 s10, s6, 0x45000000
	s_xor_b32 s11, s5, 0x80000000
	s_delay_alu instid0(SALU_CYCLE_2) | instskip(NEXT) | instid1(SALU_CYCLE_3)
	s_mul_f32 s10, s10, 0x3fb8aa3b
	v_s_exp_f32 s10, s10
	s_delay_alu instid0(TRANS32_DEP_1) | instskip(NEXT) | instid1(SALU_CYCLE_3)
	s_fmac_f32 s11, s4, s10
	s_max_num_f32 s10, s11, 0
	v_nop
	s_delay_alu instid0(SALU_CYCLE_2)
	v_dual_mov_b32 v1, 0 :: v_dual_mov_b32 v2, s10
	ds_store_b32 v1, v2 offset:512
.LBB0_2:
	s_or_b32 exec_lo, exec_lo, s8
	v_dual_lshlrev_b32 v1, 5, v0 :: v_dual_lshlrev_b32 v50, 4, v0
	s_wait_xcnt 0x0
	s_load_b64 s[10:11], s[0:1], 0x8
	s_wait_kmcnt 0x0
	s_mov_b32 s0, s5
	v_lshlrev_b32_e32 v51, 2, v0
	v_add_nc_u32_e32 v3, 0xfffff802, v1
	s_mov_b32 s8, s7
	s_delay_alu instid0(VALU_DEP_1) | instskip(NEXT) | instid1(VALU_DEP_1)
	v_cvt_f32_i32_e32 v3, v3
	v_dual_mul_f32 v3, s6, v3 :: v_dual_add_nc_u32 v2, 0xfffff800, v1
	s_delay_alu instid0(VALU_DEP_1) | instskip(NEXT) | instid1(VALU_DEP_1)
	v_cvt_f32_i32_e32 v2, v2
	v_dual_mul_f32 v3, 0x3fb8aa3b, v3 :: v_dual_mul_f32 v2, s6, v2
	s_delay_alu instid0(VALU_DEP_1) | instskip(NEXT) | instid1(VALU_DEP_1)
	v_exp_f32_e32 v3, v3
	v_mul_f32_e32 v2, 0x3fb8aa3b, v2
	s_delay_alu instid0(VALU_DEP_1) | instskip(SKIP_1) | instid1(TRANS32_DEP_1)
	v_exp_f32_e32 v2, v2
	v_nop
	v_pk_fma_f32 v[2:3], s[4:5], v[2:3], s[0:1] op_sel_hi:[0,1,0] neg_lo:[0,0,1] neg_hi:[0,0,1]
	s_delay_alu instid0(VALU_DEP_1) | instskip(NEXT) | instid1(VALU_DEP_1)
	v_dual_max_num_f32 v33, 0, v3 :: v_dual_add_nc_u32 v6, 0xfffff808, v1
	v_cvt_f32_i32_e32 v6, v6
	s_delay_alu instid0(VALU_DEP_3) | instskip(NEXT) | instid1(VALU_DEP_2)
	v_dual_max_num_f32 v32, 0, v2 :: v_dual_add_nc_u32 v7, 0xfffff80a, v1
	v_mul_f32_e32 v6, s6, v6
	s_delay_alu instid0(VALU_DEP_2) | instskip(SKIP_1) | instid1(VALU_DEP_2)
	v_cvt_f32_i32_e32 v7, v7
	v_add_nc_u32_e32 v4, 0xfffff804, v1
	v_dual_mul_f32 v6, 0x3fb8aa3b, v6 :: v_dual_mul_f32 v7, s6, v7
	s_delay_alu instid0(VALU_DEP_2) | instskip(SKIP_1) | instid1(VALU_DEP_3)
	v_cvt_f32_i32_e32 v4, v4
	v_add_nc_u32_e32 v5, 0xfffff806, v1
	v_exp_f32_e32 v6, v6
	s_delay_alu instid0(VALU_DEP_2) | instskip(NEXT) | instid1(VALU_DEP_2)
	v_dual_mul_f32 v7, 0x3fb8aa3b, v7 :: v_dual_mul_f32 v4, s6, v4
	v_cvt_f32_i32_e32 v5, v5
	s_delay_alu instid0(VALU_DEP_2) | instskip(NEXT) | instid1(VALU_DEP_1)
	v_exp_f32_e32 v7, v7
	v_dual_mul_f32 v4, 0x3fb8aa3b, v4 :: v_dual_mul_f32 v5, s6, v5
	s_delay_alu instid0(VALU_DEP_1) | instskip(NEXT) | instid1(VALU_DEP_1)
	v_exp_f32_e32 v4, v4
	v_mul_f32_e32 v5, 0x3fb8aa3b, v5
	s_delay_alu instid0(VALU_DEP_1) | instskip(SKIP_1) | instid1(TRANS32_DEP_1)
	v_exp_f32_e32 v5, v5
	v_nop
	v_pk_fma_f32 v[2:3], s[4:5], v[4:5], s[0:1] op_sel_hi:[0,1,0] neg_lo:[0,0,1] neg_hi:[0,0,1]
	v_add_nc_u32_e32 v10, 0xfffff810, v1
	v_pk_fma_f32 v[4:5], s[4:5], v[6:7], s[0:1] op_sel_hi:[0,1,0] neg_lo:[0,0,1] neg_hi:[0,0,1]
	s_delay_alu instid0(VALU_DEP_3) | instskip(NEXT) | instid1(VALU_DEP_3)
	v_max_num_f32_e32 v35, 0, v3
	v_cvt_f32_i32_e32 v6, v10
	v_dual_max_num_f32 v34, 0, v2 :: v_dual_add_nc_u32 v11, 0xfffff812, v1
	s_delay_alu instid0(VALU_DEP_4) | instskip(NEXT) | instid1(VALU_DEP_3)
	v_dual_max_num_f32 v36, 0, v4 :: v_dual_max_num_f32 v37, 0, v5
	v_mul_f32_e32 v6, s6, v6
	s_delay_alu instid0(VALU_DEP_3) | instskip(SKIP_1) | instid1(VALU_DEP_3)
	v_cvt_f32_i32_e32 v7, v11
	v_add_nc_u32_e32 v8, 0xfffff80c, v1
	v_mul_f32_e32 v11, 0x3fb8aa3b, v6
	s_delay_alu instid0(VALU_DEP_3) | instskip(NEXT) | instid1(VALU_DEP_3)
	v_mul_f32_e32 v7, s6, v7
	v_cvt_f32_i32_e32 v8, v8
	v_add_nc_u32_e32 v9, 0xfffff80e, v1
	s_delay_alu instid0(VALU_DEP_3) | instskip(NEXT) | instid1(VALU_DEP_3)
	v_mul_f32_e32 v14, 0x3fb8aa3b, v7
	v_mul_f32_e32 v8, s6, v8
	s_delay_alu instid0(VALU_DEP_3) | instskip(NEXT) | instid1(VALU_DEP_1)
	v_cvt_f32_i32_e32 v9, v9
	v_dual_mul_f32 v8, 0x3fb8aa3b, v8 :: v_dual_mul_f32 v9, s6, v9
	s_delay_alu instid0(VALU_DEP_1) | instskip(NEXT) | instid1(VALU_DEP_1)
	v_exp_f32_e32 v6, v8
	v_mul_f32_e32 v9, 0x3fb8aa3b, v9
	v_exp_f32_e32 v8, v11
	s_delay_alu instid0(VALU_DEP_1) | instskip(SKIP_1) | instid1(TRANS32_DEP_2)
	v_exp_f32_e32 v7, v9
	v_exp_f32_e32 v9, v14
	v_pk_fma_f32 v[2:3], s[4:5], v[6:7], s[0:1] op_sel_hi:[0,1,0] neg_lo:[0,0,1] neg_hi:[0,0,1]
	v_add_nc_u32_e32 v7, 0xfffff816, v1
	s_delay_alu instid0(TRANS32_DEP_1) | instskip(SKIP_1) | instid1(VALU_DEP_4)
	v_pk_fma_f32 v[4:5], s[4:5], v[8:9], s[0:1] op_sel_hi:[0,1,0] neg_lo:[0,0,1] neg_hi:[0,0,1]
	v_add_nc_u32_e32 v9, 0xfffff81a, v1
	v_dual_max_num_f32 v39, 0, v3 :: v_dual_add_nc_u32 v8, 0xfffff818, v1
	s_delay_alu instid0(VALU_DEP_4) | instskip(SKIP_1) | instid1(VALU_DEP_4)
	v_cvt_f32_i32_e32 v7, v7
	v_add_nc_u32_e32 v10, 0xfffff814, v1
	v_cvt_f32_i32_e32 v9, v9
	v_dual_max_num_f32 v40, 0, v4 :: v_dual_max_num_f32 v41, 0, v5
	s_delay_alu instid0(VALU_DEP_4) | instskip(NEXT) | instid1(VALU_DEP_4)
	v_mul_f32_e32 v7, s6, v7
	v_cvt_f32_i32_e32 v10, v10
	s_delay_alu instid0(VALU_DEP_4) | instskip(NEXT) | instid1(VALU_DEP_2)
	v_dual_mul_f32 v9, s6, v9 :: v_dual_max_num_f32 v38, 0, v2
	v_mul_f32_e32 v10, s6, v10
	s_delay_alu instid0(VALU_DEP_1) | instskip(NEXT) | instid1(VALU_DEP_1)
	v_mul_f32_e32 v10, 0x3fb8aa3b, v10
	v_exp_f32_e32 v6, v10
	v_nop
	v_add_nc_u32_e32 v10, 0xfffff81c, v1
	s_delay_alu instid0(VALU_DEP_1) | instskip(NEXT) | instid1(VALU_DEP_1)
	v_cvt_f32_i32_e32 v10, v10
	v_dual_mul_f32 v10, s6, v10 :: v_dual_add_nc_u32 v1, 0xfffff81e, v1
	s_delay_alu instid0(VALU_DEP_1) | instskip(NEXT) | instid1(VALU_DEP_2)
	v_cvt_f32_i32_e32 v1, v1
	v_dual_mul_f32 v9, 0x3fb8aa3b, v9 :: v_dual_mul_f32 v10, 0x3fb8aa3b, v10
	s_delay_alu instid0(VALU_DEP_2) | instskip(SKIP_1) | instid1(VALU_DEP_3)
	v_mul_f32_e32 v1, s6, v1
	v_cvt_f32_i32_e32 v8, v8
	v_exp_f32_e32 v9, v9
	s_delay_alu instid0(VALU_DEP_3) | instskip(NEXT) | instid1(VALU_DEP_1)
	v_exp_f32_e32 v10, v10
	v_dual_mul_f32 v1, 0x3fb8aa3b, v1 :: v_dual_mul_f32 v8, s6, v8
	v_mul_f32_e32 v7, 0x3fb8aa3b, v7
	s_mov_b32 s6, s7
	s_delay_alu instid0(VALU_DEP_2) | instskip(NEXT) | instid1(VALU_DEP_2)
	v_exp_f32_e32 v11, v1
	v_mul_f32_e32 v8, 0x3fb8aa3b, v8
	s_delay_alu instid0(VALU_DEP_2) | instskip(NEXT) | instid1(VALU_DEP_1)
	v_exp_f32_e32 v7, v7
	v_exp_f32_e32 v8, v8
	s_delay_alu instid0(TRANS32_DEP_3) | instskip(NEXT) | instid1(TRANS32_DEP_2)
	v_pk_fma_f32 v[4:5], s[4:5], v[10:11], s[0:1] op_sel_hi:[0,1,0] neg_lo:[0,0,1] neg_hi:[0,0,1]
	v_pk_fma_f32 v[2:3], s[4:5], v[6:7], s[0:1] op_sel_hi:[0,1,0] neg_lo:[0,0,1] neg_hi:[0,0,1]
	s_delay_alu instid0(VALU_DEP_2) | instskip(NEXT) | instid1(TRANS32_DEP_1)
	v_dual_max_num_f32 v46, 0, v4 :: v_dual_max_num_f32 v47, 0, v5
	v_pk_fma_f32 v[6:7], s[4:5], v[8:9], s[0:1] op_sel_hi:[0,1,0] neg_lo:[0,0,1] neg_hi:[0,0,1]
	s_delay_alu instid0(VALU_DEP_3) | instskip(SKIP_2) | instid1(VALU_DEP_2)
	v_dual_max_num_f32 v42, 0, v2 :: v_dual_max_num_f32 v43, 0, v3
	s_mov_b32 s4, s9
	s_mov_b32 s5, s9
	v_dual_max_num_f32 v44, 0, v6 :: v_dual_max_num_f32 v45, 0, v7
	s_movk_i32 s1, 0x800
	s_branch .LBB0_4
.LBB0_3:                                ;   in Loop: Header=BB0_4 Depth=1
	s_or_b32 exec_lo, exec_lo, s1
	s_add_co_i32 s1, s12, -1
	s_cmp_eq_u32 s12, 1
	s_cbranch_scc1 .LBB0_36
.LBB0_4:                                ; =>This Inner Loop Header: Depth=1
	ds_store_b32 v51, v32
	s_wait_dscnt 0x0
	s_barrier_signal -1
	s_barrier_wait -1
	ds_load_b32 v48, v51 offset:4
	s_wait_dscnt 0x0
	v_mov_b64_e32 v[0:1], v[32:33]
	v_mov_b64_e32 v[2:3], v[34:35]
	;; [unrolled: 1-line block ×8, first 2 shown]
	s_mov_b32 s12, exec_lo
	s_barrier_signal -1
	s_barrier_wait -1
	v_mov_b64_e32 v[18:19], v[50:51]
	v_mov_b64_e32 v[20:21], v[52:53]
	;; [unrolled: 1-line block ×8, first 2 shown]
	v_cmpx_ge_u32_e64 s1, v50
	s_cbranch_execz .LBB0_6
; %bb.5:                                ;   in Loop: Header=BB0_4 Depth=1
	v_dual_mov_b32 v0, v32 :: v_dual_mov_b32 v1, v33
	v_dual_mov_b32 v2, v33 :: v_dual_mov_b32 v3, v34
	v_mov_b64_e32 v[32:33], s[6:7]
	v_dual_mov_b32 v4, v35 :: v_dual_mov_b32 v5, v36
	v_dual_mov_b32 v6, v34 :: v_dual_mov_b32 v7, v35
	v_mov_b64_e32 v[34:35], s[4:5]
	v_dual_mov_b32 v8, v37 :: v_dual_mov_b32 v9, v38
	v_pk_mul_f32 v[2:3], v[32:33], v[2:3]
	v_pk_mul_f32 v[4:5], v[32:33], v[4:5]
	v_dual_mov_b32 v49, v47 :: v_dual_mul_f32 v28, s7, v47
	v_dual_mov_b32 v10, v36 :: v_dual_mov_b32 v11, v37
	s_delay_alu instid0(VALU_DEP_4) | instskip(NEXT) | instid1(VALU_DEP_4)
	v_pk_fma_f32 v[0:1], v[34:35], v[0:1], v[2:3]
	v_pk_fma_f32 v[2:3], v[34:35], v[6:7], v[4:5]
	v_mov_b64_e32 v[6:7], s[8:9]
	v_dual_mov_b32 v12, v39 :: v_dual_mov_b32 v13, v40
	v_dual_mov_b32 v16, v41 :: v_dual_mov_b32 v17, v42
	;; [unrolled: 1-line block ×4, first 2 shown]
	v_pk_mul_f32 v[4:5], v[32:33], v[8:9]
	v_pk_mul_f32 v[6:7], v[6:7], v[48:49]
	v_dual_mov_b32 v14, v38 :: v_dual_mov_b32 v15, v39
	v_dual_mov_b32 v18, v40 :: v_dual_mov_b32 v19, v41
	;; [unrolled: 1-line block ×4, first 2 shown]
	v_dual_mul_f32 v30, s9, v46 :: v_dual_mov_b32 v31, v7
	v_pk_fma_f32 v[4:5], v[34:35], v[10:11], v[4:5]
	v_pk_mul_f32 v[8:9], v[32:33], v[12:13]
	v_pk_mul_f32 v[10:11], v[32:33], v[16:17]
	;; [unrolled: 1-line block ×4, first 2 shown]
	v_dual_mov_b32 v29, v6 :: v_dual_mov_b32 v32, v0
	v_pk_fma_f32 v[6:7], v[34:35], v[14:15], v[8:9]
	v_pk_fma_f32 v[8:9], v[34:35], v[18:19], v[10:11]
	;; [unrolled: 1-line block ×4, first 2 shown]
	v_pk_add_f32 v[14:15], v[30:31], v[28:29]
	v_dual_mov_b32 v33, v1 :: v_dual_mov_b32 v34, v2
	v_dual_mov_b32 v35, v3 :: v_dual_mov_b32 v36, v4
	;; [unrolled: 1-line block ×7, first 2 shown]
	v_mov_b32_e32 v47, v15
.LBB0_6:                                ;   in Loop: Header=BB0_4 Depth=1
	s_or_b32 exec_lo, exec_lo, s12
	ds_store_b32 v51, v32
	s_wait_dscnt 0x0
	s_barrier_signal -1
	s_barrier_wait -1
	ds_load_b32 v16, v51 offset:4
	s_add_co_i32 s1, s1, -1
	s_mov_b32 s12, exec_lo
	s_wait_dscnt 0x0
	s_barrier_signal -1
	s_barrier_wait -1
	v_cmpx_ge_u32_e64 s1, v50
	s_cbranch_execz .LBB0_8
; %bb.7:                                ;   in Loop: Header=BB0_4 Depth=1
	v_mov_b64_e32 v[24:25], s[6:7]
	v_dual_mov_b32 v28, v5 :: v_dual_mov_b32 v29, v6
	v_mov_b64_e32 v[30:31], s[4:5]
	v_dual_mov_b32 v22, v1 :: v_dual_mov_b32 v23, v2
	v_dual_mov_b32 v26, v3 :: v_dual_mov_b32 v27, v4
	s_delay_alu instid0(VALU_DEP_4) | instskip(SKIP_1) | instid1(VALU_DEP_4)
	v_pk_mul_f32 v[28:29], v[24:25], v[28:29]
	v_dual_mov_b32 v17, v15 :: v_dual_mov_b32 v32, v11
	v_pk_mul_f32 v[22:23], v[24:25], v[22:23]
	s_delay_alu instid0(VALU_DEP_4) | instskip(NEXT) | instid1(VALU_DEP_4)
	v_pk_mul_f32 v[26:27], v[24:25], v[26:27]
	v_pk_fma_f32 v[4:5], v[30:31], v[4:5], v[28:29]
	v_mov_b64_e32 v[28:29], s[8:9]
	v_dual_mov_b32 v33, v12 :: v_dual_mov_b32 v34, v13
	v_pk_fma_f32 v[0:1], v[30:31], v[0:1], v[22:23]
	v_pk_fma_f32 v[2:3], v[30:31], v[2:3], v[26:27]
	v_dual_mov_b32 v22, v7 :: v_dual_mov_b32 v23, v8
	v_dual_mov_b32 v26, v9 :: v_dual_mov_b32 v27, v10
	v_mov_b32_e32 v35, v14
	v_pk_mul_f32 v[14:15], v[28:29], v[16:17]
	v_dual_mul_f32 v18, s7, v47 :: v_dual_mul_f32 v20, s9, v46
	v_pk_mul_f32 v[16:17], v[24:25], v[22:23]
	v_pk_mul_f32 v[22:23], v[24:25], v[26:27]
	;; [unrolled: 1-line block ×3, first 2 shown]
	v_mov_b32_e32 v21, v15
	v_pk_mul_f32 v[24:25], v[24:25], v[34:35]
	v_dual_mov_b32 v19, v14 :: v_dual_mov_b32 v32, v0
	v_pk_fma_f32 v[6:7], v[30:31], v[6:7], v[16:17]
	v_pk_fma_f32 v[8:9], v[30:31], v[8:9], v[22:23]
	;; [unrolled: 1-line block ×4, first 2 shown]
	v_pk_add_f32 v[14:15], v[20:21], v[18:19]
	v_dual_mov_b32 v33, v1 :: v_dual_mov_b32 v34, v2
	v_dual_mov_b32 v35, v3 :: v_dual_mov_b32 v36, v4
	;; [unrolled: 1-line block ×7, first 2 shown]
	v_mov_b32_e32 v47, v15
.LBB0_8:                                ;   in Loop: Header=BB0_4 Depth=1
	s_or_b32 exec_lo, exec_lo, s12
	ds_store_b32 v51, v32
	s_wait_dscnt 0x0
	s_barrier_signal -1
	s_barrier_wait -1
	ds_load_b32 v16, v51 offset:4
	s_add_co_i32 s1, s1, -1
	s_mov_b32 s12, exec_lo
	s_wait_dscnt 0x0
	s_barrier_signal -1
	s_barrier_wait -1
	v_cmpx_ge_u32_e64 s1, v50
	s_cbranch_execz .LBB0_10
; %bb.9:                                ;   in Loop: Header=BB0_4 Depth=1
	v_mov_b64_e32 v[24:25], s[6:7]
	v_dual_mov_b32 v28, v5 :: v_dual_mov_b32 v29, v6
	v_mov_b64_e32 v[30:31], s[4:5]
	v_dual_mov_b32 v22, v1 :: v_dual_mov_b32 v23, v2
	v_dual_mov_b32 v26, v3 :: v_dual_mov_b32 v27, v4
	s_delay_alu instid0(VALU_DEP_4) | instskip(SKIP_1) | instid1(VALU_DEP_4)
	v_pk_mul_f32 v[28:29], v[24:25], v[28:29]
	v_dual_mov_b32 v17, v15 :: v_dual_mov_b32 v32, v11
	v_pk_mul_f32 v[22:23], v[24:25], v[22:23]
	s_delay_alu instid0(VALU_DEP_4) | instskip(NEXT) | instid1(VALU_DEP_4)
	v_pk_mul_f32 v[26:27], v[24:25], v[26:27]
	v_pk_fma_f32 v[4:5], v[30:31], v[4:5], v[28:29]
	v_mov_b64_e32 v[28:29], s[8:9]
	v_dual_mov_b32 v33, v12 :: v_dual_mov_b32 v34, v13
	v_pk_fma_f32 v[0:1], v[30:31], v[0:1], v[22:23]
	v_pk_fma_f32 v[2:3], v[30:31], v[2:3], v[26:27]
	v_dual_mov_b32 v22, v7 :: v_dual_mov_b32 v23, v8
	v_dual_mov_b32 v26, v9 :: v_dual_mov_b32 v27, v10
	v_mov_b32_e32 v35, v14
	v_pk_mul_f32 v[14:15], v[28:29], v[16:17]
	v_dual_mul_f32 v18, s7, v47 :: v_dual_mul_f32 v20, s9, v46
	v_pk_mul_f32 v[16:17], v[24:25], v[22:23]
	v_pk_mul_f32 v[22:23], v[24:25], v[26:27]
	;; [unrolled: 1-line block ×3, first 2 shown]
	v_mov_b32_e32 v21, v15
	v_pk_mul_f32 v[24:25], v[24:25], v[34:35]
	v_dual_mov_b32 v19, v14 :: v_dual_mov_b32 v32, v0
	v_pk_fma_f32 v[6:7], v[30:31], v[6:7], v[16:17]
	v_pk_fma_f32 v[8:9], v[30:31], v[8:9], v[22:23]
	v_pk_fma_f32 v[10:11], v[30:31], v[10:11], v[26:27]
	v_pk_fma_f32 v[12:13], v[30:31], v[12:13], v[24:25]
	v_pk_add_f32 v[14:15], v[20:21], v[18:19]
	v_dual_mov_b32 v33, v1 :: v_dual_mov_b32 v34, v2
	v_dual_mov_b32 v35, v3 :: v_dual_mov_b32 v36, v4
	;; [unrolled: 1-line block ×7, first 2 shown]
	v_mov_b32_e32 v47, v15
.LBB0_10:                               ;   in Loop: Header=BB0_4 Depth=1
	s_or_b32 exec_lo, exec_lo, s12
	ds_store_b32 v51, v32
	s_wait_dscnt 0x0
	s_barrier_signal -1
	s_barrier_wait -1
	ds_load_b32 v16, v51 offset:4
	s_add_co_i32 s1, s1, -1
	s_mov_b32 s12, exec_lo
	s_wait_dscnt 0x0
	s_barrier_signal -1
	s_barrier_wait -1
	v_cmpx_ge_u32_e64 s1, v50
	s_cbranch_execz .LBB0_12
; %bb.11:                               ;   in Loop: Header=BB0_4 Depth=1
	v_mov_b64_e32 v[24:25], s[6:7]
	v_dual_mov_b32 v28, v5 :: v_dual_mov_b32 v29, v6
	v_mov_b64_e32 v[30:31], s[4:5]
	v_dual_mov_b32 v22, v1 :: v_dual_mov_b32 v23, v2
	v_dual_mov_b32 v26, v3 :: v_dual_mov_b32 v27, v4
	s_delay_alu instid0(VALU_DEP_4) | instskip(SKIP_1) | instid1(VALU_DEP_4)
	v_pk_mul_f32 v[28:29], v[24:25], v[28:29]
	v_dual_mov_b32 v17, v15 :: v_dual_mov_b32 v32, v11
	v_pk_mul_f32 v[22:23], v[24:25], v[22:23]
	s_delay_alu instid0(VALU_DEP_4) | instskip(NEXT) | instid1(VALU_DEP_4)
	v_pk_mul_f32 v[26:27], v[24:25], v[26:27]
	v_pk_fma_f32 v[4:5], v[30:31], v[4:5], v[28:29]
	v_mov_b64_e32 v[28:29], s[8:9]
	v_dual_mov_b32 v33, v12 :: v_dual_mov_b32 v34, v13
	v_pk_fma_f32 v[0:1], v[30:31], v[0:1], v[22:23]
	v_pk_fma_f32 v[2:3], v[30:31], v[2:3], v[26:27]
	v_dual_mov_b32 v22, v7 :: v_dual_mov_b32 v23, v8
	v_dual_mov_b32 v26, v9 :: v_dual_mov_b32 v27, v10
	v_mov_b32_e32 v35, v14
	v_pk_mul_f32 v[14:15], v[28:29], v[16:17]
	v_dual_mul_f32 v18, s7, v47 :: v_dual_mul_f32 v20, s9, v46
	v_pk_mul_f32 v[16:17], v[24:25], v[22:23]
	v_pk_mul_f32 v[22:23], v[24:25], v[26:27]
	v_pk_mul_f32 v[26:27], v[24:25], v[32:33]
	v_mov_b32_e32 v21, v15
	v_pk_mul_f32 v[24:25], v[24:25], v[34:35]
	v_dual_mov_b32 v19, v14 :: v_dual_mov_b32 v32, v0
	v_pk_fma_f32 v[6:7], v[30:31], v[6:7], v[16:17]
	v_pk_fma_f32 v[8:9], v[30:31], v[8:9], v[22:23]
	v_pk_fma_f32 v[10:11], v[30:31], v[10:11], v[26:27]
	v_pk_fma_f32 v[12:13], v[30:31], v[12:13], v[24:25]
	v_pk_add_f32 v[14:15], v[20:21], v[18:19]
	v_dual_mov_b32 v33, v1 :: v_dual_mov_b32 v34, v2
	v_dual_mov_b32 v35, v3 :: v_dual_mov_b32 v36, v4
	v_dual_mov_b32 v37, v5 :: v_dual_mov_b32 v38, v6
	v_dual_mov_b32 v39, v7 :: v_dual_mov_b32 v40, v8
	v_dual_mov_b32 v41, v9 :: v_dual_mov_b32 v42, v10
	v_dual_mov_b32 v43, v11 :: v_dual_mov_b32 v44, v12
	v_dual_mov_b32 v45, v13 :: v_dual_mov_b32 v46, v14
	v_mov_b32_e32 v47, v15
.LBB0_12:                               ;   in Loop: Header=BB0_4 Depth=1
	s_or_b32 exec_lo, exec_lo, s12
	ds_store_b32 v51, v32
	s_wait_dscnt 0x0
	s_barrier_signal -1
	s_barrier_wait -1
	ds_load_b32 v16, v51 offset:4
	s_add_co_i32 s1, s1, -1
	s_mov_b32 s12, exec_lo
	s_wait_dscnt 0x0
	s_barrier_signal -1
	s_barrier_wait -1
	v_cmpx_ge_u32_e64 s1, v50
	s_cbranch_execz .LBB0_14
; %bb.13:                               ;   in Loop: Header=BB0_4 Depth=1
	v_mov_b64_e32 v[24:25], s[6:7]
	v_dual_mov_b32 v28, v5 :: v_dual_mov_b32 v29, v6
	v_mov_b64_e32 v[30:31], s[4:5]
	v_dual_mov_b32 v22, v1 :: v_dual_mov_b32 v23, v2
	v_dual_mov_b32 v26, v3 :: v_dual_mov_b32 v27, v4
	s_delay_alu instid0(VALU_DEP_4) | instskip(SKIP_1) | instid1(VALU_DEP_4)
	v_pk_mul_f32 v[28:29], v[24:25], v[28:29]
	v_dual_mov_b32 v17, v15 :: v_dual_mov_b32 v32, v11
	v_pk_mul_f32 v[22:23], v[24:25], v[22:23]
	s_delay_alu instid0(VALU_DEP_4) | instskip(NEXT) | instid1(VALU_DEP_4)
	v_pk_mul_f32 v[26:27], v[24:25], v[26:27]
	v_pk_fma_f32 v[4:5], v[30:31], v[4:5], v[28:29]
	v_mov_b64_e32 v[28:29], s[8:9]
	v_dual_mov_b32 v33, v12 :: v_dual_mov_b32 v34, v13
	v_pk_fma_f32 v[0:1], v[30:31], v[0:1], v[22:23]
	v_pk_fma_f32 v[2:3], v[30:31], v[2:3], v[26:27]
	v_dual_mov_b32 v22, v7 :: v_dual_mov_b32 v23, v8
	v_dual_mov_b32 v26, v9 :: v_dual_mov_b32 v27, v10
	v_mov_b32_e32 v35, v14
	v_pk_mul_f32 v[14:15], v[28:29], v[16:17]
	v_dual_mul_f32 v18, s7, v47 :: v_dual_mul_f32 v20, s9, v46
	v_pk_mul_f32 v[16:17], v[24:25], v[22:23]
	v_pk_mul_f32 v[22:23], v[24:25], v[26:27]
	v_pk_mul_f32 v[26:27], v[24:25], v[32:33]
	v_mov_b32_e32 v21, v15
	v_pk_mul_f32 v[24:25], v[24:25], v[34:35]
	v_dual_mov_b32 v19, v14 :: v_dual_mov_b32 v32, v0
	v_pk_fma_f32 v[6:7], v[30:31], v[6:7], v[16:17]
	v_pk_fma_f32 v[8:9], v[30:31], v[8:9], v[22:23]
	v_pk_fma_f32 v[10:11], v[30:31], v[10:11], v[26:27]
	v_pk_fma_f32 v[12:13], v[30:31], v[12:13], v[24:25]
	v_pk_add_f32 v[14:15], v[20:21], v[18:19]
	v_dual_mov_b32 v33, v1 :: v_dual_mov_b32 v34, v2
	v_dual_mov_b32 v35, v3 :: v_dual_mov_b32 v36, v4
	v_dual_mov_b32 v37, v5 :: v_dual_mov_b32 v38, v6
	v_dual_mov_b32 v39, v7 :: v_dual_mov_b32 v40, v8
	v_dual_mov_b32 v41, v9 :: v_dual_mov_b32 v42, v10
	v_dual_mov_b32 v43, v11 :: v_dual_mov_b32 v44, v12
	v_dual_mov_b32 v45, v13 :: v_dual_mov_b32 v46, v14
	v_mov_b32_e32 v47, v15
.LBB0_14:                               ;   in Loop: Header=BB0_4 Depth=1
	s_or_b32 exec_lo, exec_lo, s12
	ds_store_b32 v51, v32
	s_wait_dscnt 0x0
	s_barrier_signal -1
	s_barrier_wait -1
	ds_load_b32 v16, v51 offset:4
	s_add_co_i32 s1, s1, -1
	s_mov_b32 s12, exec_lo
	s_wait_dscnt 0x0
	s_barrier_signal -1
	s_barrier_wait -1
	v_cmpx_ge_u32_e64 s1, v50
	s_cbranch_execz .LBB0_16
; %bb.15:                               ;   in Loop: Header=BB0_4 Depth=1
	v_mov_b64_e32 v[24:25], s[6:7]
	v_dual_mov_b32 v28, v5 :: v_dual_mov_b32 v29, v6
	v_mov_b64_e32 v[30:31], s[4:5]
	v_dual_mov_b32 v22, v1 :: v_dual_mov_b32 v23, v2
	v_dual_mov_b32 v26, v3 :: v_dual_mov_b32 v27, v4
	s_delay_alu instid0(VALU_DEP_4) | instskip(SKIP_1) | instid1(VALU_DEP_4)
	v_pk_mul_f32 v[28:29], v[24:25], v[28:29]
	v_dual_mov_b32 v17, v15 :: v_dual_mov_b32 v32, v11
	v_pk_mul_f32 v[22:23], v[24:25], v[22:23]
	s_delay_alu instid0(VALU_DEP_4) | instskip(NEXT) | instid1(VALU_DEP_4)
	v_pk_mul_f32 v[26:27], v[24:25], v[26:27]
	v_pk_fma_f32 v[4:5], v[30:31], v[4:5], v[28:29]
	v_mov_b64_e32 v[28:29], s[8:9]
	v_dual_mov_b32 v33, v12 :: v_dual_mov_b32 v34, v13
	v_pk_fma_f32 v[0:1], v[30:31], v[0:1], v[22:23]
	v_pk_fma_f32 v[2:3], v[30:31], v[2:3], v[26:27]
	v_dual_mov_b32 v22, v7 :: v_dual_mov_b32 v23, v8
	v_dual_mov_b32 v26, v9 :: v_dual_mov_b32 v27, v10
	v_mov_b32_e32 v35, v14
	v_pk_mul_f32 v[14:15], v[28:29], v[16:17]
	v_dual_mul_f32 v18, s7, v47 :: v_dual_mul_f32 v20, s9, v46
	v_pk_mul_f32 v[16:17], v[24:25], v[22:23]
	v_pk_mul_f32 v[22:23], v[24:25], v[26:27]
	v_pk_mul_f32 v[26:27], v[24:25], v[32:33]
	v_mov_b32_e32 v21, v15
	v_pk_mul_f32 v[24:25], v[24:25], v[34:35]
	v_dual_mov_b32 v19, v14 :: v_dual_mov_b32 v32, v0
	v_pk_fma_f32 v[6:7], v[30:31], v[6:7], v[16:17]
	v_pk_fma_f32 v[8:9], v[30:31], v[8:9], v[22:23]
	v_pk_fma_f32 v[10:11], v[30:31], v[10:11], v[26:27]
	v_pk_fma_f32 v[12:13], v[30:31], v[12:13], v[24:25]
	v_pk_add_f32 v[14:15], v[20:21], v[18:19]
	v_dual_mov_b32 v33, v1 :: v_dual_mov_b32 v34, v2
	v_dual_mov_b32 v35, v3 :: v_dual_mov_b32 v36, v4
	v_dual_mov_b32 v37, v5 :: v_dual_mov_b32 v38, v6
	v_dual_mov_b32 v39, v7 :: v_dual_mov_b32 v40, v8
	v_dual_mov_b32 v41, v9 :: v_dual_mov_b32 v42, v10
	v_dual_mov_b32 v43, v11 :: v_dual_mov_b32 v44, v12
	v_dual_mov_b32 v45, v13 :: v_dual_mov_b32 v46, v14
	v_mov_b32_e32 v47, v15
.LBB0_16:                               ;   in Loop: Header=BB0_4 Depth=1
	s_or_b32 exec_lo, exec_lo, s12
	ds_store_b32 v51, v32
	s_wait_dscnt 0x0
	s_barrier_signal -1
	s_barrier_wait -1
	ds_load_b32 v16, v51 offset:4
	s_add_co_i32 s1, s1, -1
	s_mov_b32 s12, exec_lo
	s_wait_dscnt 0x0
	s_barrier_signal -1
	s_barrier_wait -1
	v_cmpx_ge_u32_e64 s1, v50
	s_cbranch_execz .LBB0_18
; %bb.17:                               ;   in Loop: Header=BB0_4 Depth=1
	v_mov_b64_e32 v[24:25], s[6:7]
	v_dual_mov_b32 v28, v5 :: v_dual_mov_b32 v29, v6
	v_mov_b64_e32 v[30:31], s[4:5]
	v_dual_mov_b32 v22, v1 :: v_dual_mov_b32 v23, v2
	v_dual_mov_b32 v26, v3 :: v_dual_mov_b32 v27, v4
	s_delay_alu instid0(VALU_DEP_4) | instskip(SKIP_1) | instid1(VALU_DEP_4)
	v_pk_mul_f32 v[28:29], v[24:25], v[28:29]
	v_dual_mov_b32 v17, v15 :: v_dual_mov_b32 v32, v11
	v_pk_mul_f32 v[22:23], v[24:25], v[22:23]
	s_delay_alu instid0(VALU_DEP_4) | instskip(NEXT) | instid1(VALU_DEP_4)
	v_pk_mul_f32 v[26:27], v[24:25], v[26:27]
	v_pk_fma_f32 v[4:5], v[30:31], v[4:5], v[28:29]
	v_mov_b64_e32 v[28:29], s[8:9]
	v_dual_mov_b32 v33, v12 :: v_dual_mov_b32 v34, v13
	v_pk_fma_f32 v[0:1], v[30:31], v[0:1], v[22:23]
	v_pk_fma_f32 v[2:3], v[30:31], v[2:3], v[26:27]
	v_dual_mov_b32 v22, v7 :: v_dual_mov_b32 v23, v8
	v_dual_mov_b32 v26, v9 :: v_dual_mov_b32 v27, v10
	v_mov_b32_e32 v35, v14
	v_pk_mul_f32 v[14:15], v[28:29], v[16:17]
	v_dual_mul_f32 v18, s7, v47 :: v_dual_mul_f32 v20, s9, v46
	v_pk_mul_f32 v[16:17], v[24:25], v[22:23]
	v_pk_mul_f32 v[22:23], v[24:25], v[26:27]
	v_pk_mul_f32 v[26:27], v[24:25], v[32:33]
	v_mov_b32_e32 v21, v15
	v_pk_mul_f32 v[24:25], v[24:25], v[34:35]
	v_dual_mov_b32 v19, v14 :: v_dual_mov_b32 v32, v0
	v_pk_fma_f32 v[6:7], v[30:31], v[6:7], v[16:17]
	v_pk_fma_f32 v[8:9], v[30:31], v[8:9], v[22:23]
	v_pk_fma_f32 v[10:11], v[30:31], v[10:11], v[26:27]
	v_pk_fma_f32 v[12:13], v[30:31], v[12:13], v[24:25]
	v_pk_add_f32 v[14:15], v[20:21], v[18:19]
	v_dual_mov_b32 v33, v1 :: v_dual_mov_b32 v34, v2
	v_dual_mov_b32 v35, v3 :: v_dual_mov_b32 v36, v4
	v_dual_mov_b32 v37, v5 :: v_dual_mov_b32 v38, v6
	v_dual_mov_b32 v39, v7 :: v_dual_mov_b32 v40, v8
	v_dual_mov_b32 v41, v9 :: v_dual_mov_b32 v42, v10
	v_dual_mov_b32 v43, v11 :: v_dual_mov_b32 v44, v12
	v_dual_mov_b32 v45, v13 :: v_dual_mov_b32 v46, v14
	v_mov_b32_e32 v47, v15
.LBB0_18:                               ;   in Loop: Header=BB0_4 Depth=1
	s_or_b32 exec_lo, exec_lo, s12
	ds_store_b32 v51, v32
	s_wait_dscnt 0x0
	s_barrier_signal -1
	s_barrier_wait -1
	ds_load_b32 v16, v51 offset:4
	s_add_co_i32 s1, s1, -1
	s_mov_b32 s12, exec_lo
	s_wait_dscnt 0x0
	s_barrier_signal -1
	s_barrier_wait -1
	v_cmpx_ge_u32_e64 s1, v50
	s_cbranch_execz .LBB0_20
; %bb.19:                               ;   in Loop: Header=BB0_4 Depth=1
	v_mov_b64_e32 v[24:25], s[6:7]
	v_dual_mov_b32 v28, v5 :: v_dual_mov_b32 v29, v6
	v_mov_b64_e32 v[30:31], s[4:5]
	v_dual_mov_b32 v22, v1 :: v_dual_mov_b32 v23, v2
	v_dual_mov_b32 v26, v3 :: v_dual_mov_b32 v27, v4
	s_delay_alu instid0(VALU_DEP_4) | instskip(SKIP_1) | instid1(VALU_DEP_4)
	v_pk_mul_f32 v[28:29], v[24:25], v[28:29]
	v_dual_mov_b32 v17, v15 :: v_dual_mov_b32 v32, v11
	v_pk_mul_f32 v[22:23], v[24:25], v[22:23]
	s_delay_alu instid0(VALU_DEP_4) | instskip(NEXT) | instid1(VALU_DEP_4)
	v_pk_mul_f32 v[26:27], v[24:25], v[26:27]
	v_pk_fma_f32 v[4:5], v[30:31], v[4:5], v[28:29]
	v_mov_b64_e32 v[28:29], s[8:9]
	v_dual_mov_b32 v33, v12 :: v_dual_mov_b32 v34, v13
	v_pk_fma_f32 v[0:1], v[30:31], v[0:1], v[22:23]
	v_pk_fma_f32 v[2:3], v[30:31], v[2:3], v[26:27]
	v_dual_mov_b32 v22, v7 :: v_dual_mov_b32 v23, v8
	v_dual_mov_b32 v26, v9 :: v_dual_mov_b32 v27, v10
	v_mov_b32_e32 v35, v14
	v_pk_mul_f32 v[14:15], v[28:29], v[16:17]
	v_dual_mul_f32 v18, s7, v47 :: v_dual_mul_f32 v20, s9, v46
	v_pk_mul_f32 v[16:17], v[24:25], v[22:23]
	v_pk_mul_f32 v[22:23], v[24:25], v[26:27]
	v_pk_mul_f32 v[26:27], v[24:25], v[32:33]
	v_mov_b32_e32 v21, v15
	v_pk_mul_f32 v[24:25], v[24:25], v[34:35]
	v_dual_mov_b32 v19, v14 :: v_dual_mov_b32 v32, v0
	v_pk_fma_f32 v[6:7], v[30:31], v[6:7], v[16:17]
	v_pk_fma_f32 v[8:9], v[30:31], v[8:9], v[22:23]
	v_pk_fma_f32 v[10:11], v[30:31], v[10:11], v[26:27]
	v_pk_fma_f32 v[12:13], v[30:31], v[12:13], v[24:25]
	v_pk_add_f32 v[14:15], v[20:21], v[18:19]
	v_dual_mov_b32 v33, v1 :: v_dual_mov_b32 v34, v2
	v_dual_mov_b32 v35, v3 :: v_dual_mov_b32 v36, v4
	v_dual_mov_b32 v37, v5 :: v_dual_mov_b32 v38, v6
	v_dual_mov_b32 v39, v7 :: v_dual_mov_b32 v40, v8
	v_dual_mov_b32 v41, v9 :: v_dual_mov_b32 v42, v10
	v_dual_mov_b32 v43, v11 :: v_dual_mov_b32 v44, v12
	v_dual_mov_b32 v45, v13 :: v_dual_mov_b32 v46, v14
	v_mov_b32_e32 v47, v15
.LBB0_20:                               ;   in Loop: Header=BB0_4 Depth=1
	s_or_b32 exec_lo, exec_lo, s12
	ds_store_b32 v51, v32
	s_wait_dscnt 0x0
	s_barrier_signal -1
	s_barrier_wait -1
	ds_load_b32 v16, v51 offset:4
	s_add_co_i32 s1, s1, -1
	s_mov_b32 s12, exec_lo
	s_wait_dscnt 0x0
	s_barrier_signal -1
	s_barrier_wait -1
	v_cmpx_ge_u32_e64 s1, v50
	s_cbranch_execz .LBB0_22
; %bb.21:                               ;   in Loop: Header=BB0_4 Depth=1
	v_mov_b64_e32 v[24:25], s[6:7]
	v_dual_mov_b32 v28, v5 :: v_dual_mov_b32 v29, v6
	v_mov_b64_e32 v[30:31], s[4:5]
	v_dual_mov_b32 v22, v1 :: v_dual_mov_b32 v23, v2
	v_dual_mov_b32 v26, v3 :: v_dual_mov_b32 v27, v4
	s_delay_alu instid0(VALU_DEP_4) | instskip(SKIP_1) | instid1(VALU_DEP_4)
	v_pk_mul_f32 v[28:29], v[24:25], v[28:29]
	v_dual_mov_b32 v17, v15 :: v_dual_mov_b32 v32, v11
	v_pk_mul_f32 v[22:23], v[24:25], v[22:23]
	s_delay_alu instid0(VALU_DEP_4) | instskip(NEXT) | instid1(VALU_DEP_4)
	v_pk_mul_f32 v[26:27], v[24:25], v[26:27]
	v_pk_fma_f32 v[4:5], v[30:31], v[4:5], v[28:29]
	v_mov_b64_e32 v[28:29], s[8:9]
	v_dual_mov_b32 v33, v12 :: v_dual_mov_b32 v34, v13
	v_pk_fma_f32 v[0:1], v[30:31], v[0:1], v[22:23]
	v_pk_fma_f32 v[2:3], v[30:31], v[2:3], v[26:27]
	v_dual_mov_b32 v22, v7 :: v_dual_mov_b32 v23, v8
	v_dual_mov_b32 v26, v9 :: v_dual_mov_b32 v27, v10
	v_mov_b32_e32 v35, v14
	v_pk_mul_f32 v[14:15], v[28:29], v[16:17]
	v_dual_mul_f32 v18, s7, v47 :: v_dual_mul_f32 v20, s9, v46
	v_pk_mul_f32 v[16:17], v[24:25], v[22:23]
	v_pk_mul_f32 v[22:23], v[24:25], v[26:27]
	v_pk_mul_f32 v[26:27], v[24:25], v[32:33]
	v_mov_b32_e32 v21, v15
	v_pk_mul_f32 v[24:25], v[24:25], v[34:35]
	v_dual_mov_b32 v19, v14 :: v_dual_mov_b32 v32, v0
	v_pk_fma_f32 v[6:7], v[30:31], v[6:7], v[16:17]
	v_pk_fma_f32 v[8:9], v[30:31], v[8:9], v[22:23]
	v_pk_fma_f32 v[10:11], v[30:31], v[10:11], v[26:27]
	v_pk_fma_f32 v[12:13], v[30:31], v[12:13], v[24:25]
	v_pk_add_f32 v[14:15], v[20:21], v[18:19]
	v_dual_mov_b32 v33, v1 :: v_dual_mov_b32 v34, v2
	v_dual_mov_b32 v35, v3 :: v_dual_mov_b32 v36, v4
	v_dual_mov_b32 v37, v5 :: v_dual_mov_b32 v38, v6
	v_dual_mov_b32 v39, v7 :: v_dual_mov_b32 v40, v8
	v_dual_mov_b32 v41, v9 :: v_dual_mov_b32 v42, v10
	v_dual_mov_b32 v43, v11 :: v_dual_mov_b32 v44, v12
	v_dual_mov_b32 v45, v13 :: v_dual_mov_b32 v46, v14
	v_mov_b32_e32 v47, v15
.LBB0_22:                               ;   in Loop: Header=BB0_4 Depth=1
	s_or_b32 exec_lo, exec_lo, s12
	ds_store_b32 v51, v32
	s_wait_dscnt 0x0
	s_barrier_signal -1
	s_barrier_wait -1
	ds_load_b32 v16, v51 offset:4
	s_add_co_i32 s1, s1, -1
	s_mov_b32 s12, exec_lo
	s_wait_dscnt 0x0
	s_barrier_signal -1
	s_barrier_wait -1
	v_cmpx_ge_u32_e64 s1, v50
	s_cbranch_execz .LBB0_24
; %bb.23:                               ;   in Loop: Header=BB0_4 Depth=1
	v_mov_b64_e32 v[24:25], s[6:7]
	v_dual_mov_b32 v28, v5 :: v_dual_mov_b32 v29, v6
	v_mov_b64_e32 v[30:31], s[4:5]
	v_dual_mov_b32 v22, v1 :: v_dual_mov_b32 v23, v2
	v_dual_mov_b32 v26, v3 :: v_dual_mov_b32 v27, v4
	s_delay_alu instid0(VALU_DEP_4) | instskip(SKIP_1) | instid1(VALU_DEP_4)
	v_pk_mul_f32 v[28:29], v[24:25], v[28:29]
	v_dual_mov_b32 v17, v15 :: v_dual_mov_b32 v32, v11
	v_pk_mul_f32 v[22:23], v[24:25], v[22:23]
	s_delay_alu instid0(VALU_DEP_4) | instskip(NEXT) | instid1(VALU_DEP_4)
	v_pk_mul_f32 v[26:27], v[24:25], v[26:27]
	v_pk_fma_f32 v[4:5], v[30:31], v[4:5], v[28:29]
	v_mov_b64_e32 v[28:29], s[8:9]
	v_dual_mov_b32 v33, v12 :: v_dual_mov_b32 v34, v13
	v_pk_fma_f32 v[0:1], v[30:31], v[0:1], v[22:23]
	v_pk_fma_f32 v[2:3], v[30:31], v[2:3], v[26:27]
	v_dual_mov_b32 v22, v7 :: v_dual_mov_b32 v23, v8
	v_dual_mov_b32 v26, v9 :: v_dual_mov_b32 v27, v10
	v_mov_b32_e32 v35, v14
	v_pk_mul_f32 v[14:15], v[28:29], v[16:17]
	v_dual_mul_f32 v18, s7, v47 :: v_dual_mul_f32 v20, s9, v46
	v_pk_mul_f32 v[16:17], v[24:25], v[22:23]
	v_pk_mul_f32 v[22:23], v[24:25], v[26:27]
	v_pk_mul_f32 v[26:27], v[24:25], v[32:33]
	v_mov_b32_e32 v21, v15
	v_pk_mul_f32 v[24:25], v[24:25], v[34:35]
	v_dual_mov_b32 v19, v14 :: v_dual_mov_b32 v32, v0
	v_pk_fma_f32 v[6:7], v[30:31], v[6:7], v[16:17]
	v_pk_fma_f32 v[8:9], v[30:31], v[8:9], v[22:23]
	v_pk_fma_f32 v[10:11], v[30:31], v[10:11], v[26:27]
	v_pk_fma_f32 v[12:13], v[30:31], v[12:13], v[24:25]
	v_pk_add_f32 v[14:15], v[20:21], v[18:19]
	v_dual_mov_b32 v33, v1 :: v_dual_mov_b32 v34, v2
	v_dual_mov_b32 v35, v3 :: v_dual_mov_b32 v36, v4
	v_dual_mov_b32 v37, v5 :: v_dual_mov_b32 v38, v6
	v_dual_mov_b32 v39, v7 :: v_dual_mov_b32 v40, v8
	v_dual_mov_b32 v41, v9 :: v_dual_mov_b32 v42, v10
	v_dual_mov_b32 v43, v11 :: v_dual_mov_b32 v44, v12
	v_dual_mov_b32 v45, v13 :: v_dual_mov_b32 v46, v14
	v_mov_b32_e32 v47, v15
.LBB0_24:                               ;   in Loop: Header=BB0_4 Depth=1
	s_or_b32 exec_lo, exec_lo, s12
	ds_store_b32 v51, v32
	s_wait_dscnt 0x0
	s_barrier_signal -1
	s_barrier_wait -1
	ds_load_b32 v16, v51 offset:4
	v_dual_mov_b32 v17, v32 :: v_dual_mov_b32 v27, v42
	v_dual_mov_b32 v26, v41 :: v_dual_mov_b32 v25, v40
	;; [unrolled: 1-line block ×7, first 2 shown]
	s_add_co_i32 s1, s1, -1
	s_mov_b32 s12, exec_lo
	s_wait_dscnt 0x0
	s_barrier_signal -1
	s_barrier_wait -1
	v_cmpx_ge_u32_e64 s1, v50
	s_cbranch_execz .LBB0_26
; %bb.25:                               ;   in Loop: Header=BB0_4 Depth=1
	v_mov_b64_e32 v[24:25], s[6:7]
	v_dual_mov_b32 v22, v1 :: v_dual_mov_b32 v23, v2
	v_mov_b64_e32 v[30:31], s[4:5]
	v_dual_mov_b32 v26, v3 :: v_dual_mov_b32 v27, v4
	v_dual_mov_b32 v28, v5 :: v_dual_mov_b32 v29, v6
	s_delay_alu instid0(VALU_DEP_4) | instskip(SKIP_1) | instid1(VALU_DEP_4)
	v_pk_mul_f32 v[22:23], v[24:25], v[22:23]
	v_mov_b32_e32 v17, v15
	v_pk_mul_f32 v[26:27], v[24:25], v[26:27]
	v_dual_mul_f32 v18, s7, v47 :: v_dual_mul_f32 v20, s9, v46
	s_delay_alu instid0(VALU_DEP_4)
	v_pk_fma_f32 v[0:1], v[30:31], v[0:1], v[22:23]
	v_mov_b64_e32 v[22:23], s[8:9]
	v_pk_mul_f32 v[28:29], v[24:25], v[28:29]
	v_pk_fma_f32 v[2:3], v[30:31], v[2:3], v[26:27]
	v_dual_mov_b32 v26, v7 :: v_dual_mov_b32 v27, v8
	v_mov_b32_e32 v32, v13
	s_delay_alu instid0(VALU_DEP_4) | instskip(SKIP_3) | instid1(VALU_DEP_2)
	v_pk_fma_f32 v[4:5], v[30:31], v[4:5], v[28:29]
	v_dual_mov_b32 v28, v9 :: v_dual_mov_b32 v29, v10
	v_pk_mul_f32 v[16:17], v[22:23], v[16:17]
	v_dual_mov_b32 v22, v11 :: v_dual_mov_b32 v23, v12
	v_dual_mov_b32 v33, v14 :: v_dual_mov_b32 v21, v17
	s_delay_alu instid0(VALU_DEP_3)
	v_mov_b32_e32 v19, v16
	v_pk_mul_f32 v[16:17], v[24:25], v[26:27]
	v_pk_mul_f32 v[26:27], v[24:25], v[28:29]
	v_pk_mul_f32 v[22:23], v[24:25], v[22:23]
	v_pk_mul_f32 v[24:25], v[24:25], v[32:33]
	v_pk_add_f32 v[14:15], v[20:21], v[18:19]
	v_pk_fma_f32 v[6:7], v[30:31], v[6:7], v[16:17]
	v_pk_fma_f32 v[8:9], v[30:31], v[8:9], v[26:27]
	v_pk_fma_f32 v[10:11], v[30:31], v[10:11], v[22:23]
	v_pk_fma_f32 v[12:13], v[30:31], v[12:13], v[24:25]
	v_dual_mov_b32 v46, v14 :: v_dual_mov_b32 v47, v15
	v_dual_mov_b32 v17, v0 :: v_dual_mov_b32 v19, v1
	v_dual_mov_b32 v18, v2 :: v_dual_mov_b32 v20, v3
	v_dual_mov_b32 v21, v4 :: v_dual_mov_b32 v22, v5
	v_dual_mov_b32 v23, v6 :: v_dual_mov_b32 v24, v7
	v_dual_mov_b32 v25, v8 :: v_dual_mov_b32 v26, v9
	v_dual_mov_b32 v27, v10 :: v_dual_mov_b32 v28, v11
	v_dual_mov_b32 v29, v12 :: v_dual_mov_b32 v30, v13
.LBB0_26:                               ;   in Loop: Header=BB0_4 Depth=1
	s_or_b32 exec_lo, exec_lo, s12
	ds_store_b32 v51, v17
	s_wait_dscnt 0x0
	s_barrier_signal -1
	s_barrier_wait -1
	ds_load_b32 v16, v51 offset:4
	s_add_co_i32 s1, s1, -1
	s_mov_b32 s12, exec_lo
	s_wait_dscnt 0x0
	s_barrier_signal -1
	s_barrier_wait -1
	v_cmpx_ge_u32_e64 s1, v50
	s_cbranch_execz .LBB0_28
; %bb.27:                               ;   in Loop: Header=BB0_4 Depth=1
	v_mov_b64_e32 v[24:25], s[6:7]
	v_dual_mov_b32 v22, v1 :: v_dual_mov_b32 v23, v2
	v_mov_b64_e32 v[30:31], s[4:5]
	v_dual_mov_b32 v26, v3 :: v_dual_mov_b32 v27, v4
	v_dual_mov_b32 v28, v5 :: v_dual_mov_b32 v29, v6
	s_delay_alu instid0(VALU_DEP_4) | instskip(SKIP_1) | instid1(VALU_DEP_4)
	v_pk_mul_f32 v[22:23], v[24:25], v[22:23]
	v_mov_b32_e32 v17, v15
	v_pk_mul_f32 v[26:27], v[24:25], v[26:27]
	v_dual_mul_f32 v18, s7, v47 :: v_dual_mul_f32 v20, s9, v46
	s_delay_alu instid0(VALU_DEP_4)
	v_pk_fma_f32 v[0:1], v[30:31], v[0:1], v[22:23]
	v_mov_b64_e32 v[22:23], s[8:9]
	v_pk_mul_f32 v[28:29], v[24:25], v[28:29]
	v_pk_fma_f32 v[2:3], v[30:31], v[2:3], v[26:27]
	v_dual_mov_b32 v26, v7 :: v_dual_mov_b32 v27, v8
	v_mov_b32_e32 v32, v13
	s_delay_alu instid0(VALU_DEP_4) | instskip(SKIP_3) | instid1(VALU_DEP_2)
	v_pk_fma_f32 v[4:5], v[30:31], v[4:5], v[28:29]
	v_dual_mov_b32 v28, v9 :: v_dual_mov_b32 v29, v10
	v_pk_mul_f32 v[16:17], v[22:23], v[16:17]
	v_dual_mov_b32 v22, v11 :: v_dual_mov_b32 v23, v12
	v_dual_mov_b32 v33, v14 :: v_dual_mov_b32 v21, v17
	s_delay_alu instid0(VALU_DEP_3)
	v_mov_b32_e32 v19, v16
	v_pk_mul_f32 v[16:17], v[24:25], v[26:27]
	v_pk_mul_f32 v[26:27], v[24:25], v[28:29]
	v_pk_mul_f32 v[22:23], v[24:25], v[22:23]
	v_pk_mul_f32 v[24:25], v[24:25], v[32:33]
	v_pk_add_f32 v[14:15], v[20:21], v[18:19]
	v_pk_fma_f32 v[6:7], v[30:31], v[6:7], v[16:17]
	v_pk_fma_f32 v[8:9], v[30:31], v[8:9], v[26:27]
	v_pk_fma_f32 v[10:11], v[30:31], v[10:11], v[22:23]
	v_pk_fma_f32 v[12:13], v[30:31], v[12:13], v[24:25]
	v_dual_mov_b32 v46, v14 :: v_dual_mov_b32 v47, v15
	v_dual_mov_b32 v17, v0 :: v_dual_mov_b32 v19, v1
	v_dual_mov_b32 v18, v2 :: v_dual_mov_b32 v20, v3
	v_dual_mov_b32 v21, v4 :: v_dual_mov_b32 v22, v5
	v_dual_mov_b32 v23, v6 :: v_dual_mov_b32 v24, v7
	v_dual_mov_b32 v25, v8 :: v_dual_mov_b32 v26, v9
	v_dual_mov_b32 v27, v10 :: v_dual_mov_b32 v28, v11
	v_dual_mov_b32 v29, v12 :: v_dual_mov_b32 v30, v13
.LBB0_28:                               ;   in Loop: Header=BB0_4 Depth=1
	s_or_b32 exec_lo, exec_lo, s12
	ds_store_b32 v51, v17
	s_wait_dscnt 0x0
	s_barrier_signal -1
	s_barrier_wait -1
	ds_load_b32 v16, v51 offset:4
	;; [unrolled: 57-line block ×5, first 2 shown]
	v_dual_mov_b32 v32, v17 :: v_dual_mov_b32 v33, v19
	v_dual_mov_b32 v34, v18 :: v_dual_mov_b32 v35, v20
	;; [unrolled: 1-line block ×7, first 2 shown]
	s_add_co_i32 s12, s1, -1
	s_mov_b32 s1, exec_lo
	s_wait_dscnt 0x0
	s_barrier_signal -1
	s_barrier_wait -1
	v_cmpx_ge_u32_e64 s12, v50
	s_cbranch_execz .LBB0_3
; %bb.35:                               ;   in Loop: Header=BB0_4 Depth=1
	v_mov_b64_e32 v[24:25], s[6:7]
	v_dual_mov_b32 v28, v5 :: v_dual_mov_b32 v29, v6
	v_mov_b64_e32 v[30:31], s[4:5]
	v_dual_mov_b32 v22, v1 :: v_dual_mov_b32 v23, v2
	v_dual_mov_b32 v26, v3 :: v_dual_mov_b32 v27, v4
	s_delay_alu instid0(VALU_DEP_4) | instskip(SKIP_1) | instid1(VALU_DEP_4)
	v_pk_mul_f32 v[28:29], v[24:25], v[28:29]
	v_dual_mov_b32 v17, v15 :: v_dual_mov_b32 v32, v11
	v_pk_mul_f32 v[22:23], v[24:25], v[22:23]
	s_delay_alu instid0(VALU_DEP_4) | instskip(NEXT) | instid1(VALU_DEP_4)
	v_pk_mul_f32 v[26:27], v[24:25], v[26:27]
	v_pk_fma_f32 v[4:5], v[30:31], v[4:5], v[28:29]
	v_mov_b64_e32 v[28:29], s[8:9]
	v_dual_mov_b32 v33, v12 :: v_dual_mov_b32 v34, v13
	v_pk_fma_f32 v[0:1], v[30:31], v[0:1], v[22:23]
	v_pk_fma_f32 v[2:3], v[30:31], v[2:3], v[26:27]
	v_dual_mov_b32 v22, v7 :: v_dual_mov_b32 v23, v8
	v_dual_mov_b32 v26, v9 :: v_dual_mov_b32 v27, v10
	v_mov_b32_e32 v35, v14
	v_pk_mul_f32 v[14:15], v[28:29], v[16:17]
	v_dual_mul_f32 v18, s7, v47 :: v_dual_mul_f32 v20, s9, v46
	v_pk_mul_f32 v[16:17], v[24:25], v[22:23]
	v_pk_mul_f32 v[22:23], v[24:25], v[26:27]
	;; [unrolled: 1-line block ×3, first 2 shown]
	v_mov_b32_e32 v21, v15
	v_pk_mul_f32 v[24:25], v[24:25], v[34:35]
	v_dual_mov_b32 v19, v14 :: v_dual_mov_b32 v32, v0
	v_pk_fma_f32 v[6:7], v[30:31], v[6:7], v[16:17]
	v_pk_fma_f32 v[8:9], v[30:31], v[8:9], v[22:23]
	;; [unrolled: 1-line block ×4, first 2 shown]
	v_pk_add_f32 v[14:15], v[20:21], v[18:19]
	v_dual_mov_b32 v33, v1 :: v_dual_mov_b32 v34, v2
	v_dual_mov_b32 v35, v3 :: v_dual_mov_b32 v36, v4
	v_dual_mov_b32 v37, v5 :: v_dual_mov_b32 v38, v6
	v_dual_mov_b32 v39, v7 :: v_dual_mov_b32 v40, v8
	v_dual_mov_b32 v41, v9 :: v_dual_mov_b32 v42, v10
	v_dual_mov_b32 v43, v11 :: v_dual_mov_b32 v44, v12
	v_dual_mov_b32 v45, v13 :: v_dual_mov_b32 v46, v14
	v_mov_b32_e32 v47, v15
	s_branch .LBB0_3
.LBB0_36:
	s_and_saveexec_b32 s0, vcc_lo
	s_cbranch_execz .LBB0_38
; %bb.37:
	v_mov_b32_e32 v0, 0
	s_lshl_b64 s[0:1], s[2:3], 2
	s_delay_alu instid0(SALU_CYCLE_1)
	s_add_nc_u64 s[0:1], s[10:11], s[0:1]
	global_store_b32 v0, v32, s[0:1]
.LBB0_38:
	s_endpgm
	.section	.rodata,"a",@progbits
	.p2align	6, 0x0
	.amdhsa_kernel _Z21binomialOptionsKernelPK13__TOptionDataPf
		.amdhsa_group_segment_fixed_size 516
		.amdhsa_private_segment_fixed_size 0
		.amdhsa_kernarg_size 16
		.amdhsa_user_sgpr_count 2
		.amdhsa_user_sgpr_dispatch_ptr 0
		.amdhsa_user_sgpr_queue_ptr 0
		.amdhsa_user_sgpr_kernarg_segment_ptr 1
		.amdhsa_user_sgpr_dispatch_id 0
		.amdhsa_user_sgpr_kernarg_preload_length 0
		.amdhsa_user_sgpr_kernarg_preload_offset 0
		.amdhsa_user_sgpr_private_segment_size 0
		.amdhsa_wavefront_size32 1
		.amdhsa_uses_dynamic_stack 0
		.amdhsa_enable_private_segment 0
		.amdhsa_system_sgpr_workgroup_id_x 1
		.amdhsa_system_sgpr_workgroup_id_y 0
		.amdhsa_system_sgpr_workgroup_id_z 0
		.amdhsa_system_sgpr_workgroup_info 0
		.amdhsa_system_vgpr_workitem_id 0
		.amdhsa_next_free_vgpr 64
		.amdhsa_next_free_sgpr 13
		.amdhsa_named_barrier_count 0
		.amdhsa_reserve_vcc 1
		.amdhsa_float_round_mode_32 0
		.amdhsa_float_round_mode_16_64 0
		.amdhsa_float_denorm_mode_32 3
		.amdhsa_float_denorm_mode_16_64 3
		.amdhsa_fp16_overflow 0
		.amdhsa_memory_ordered 1
		.amdhsa_forward_progress 1
		.amdhsa_inst_pref_size 55
		.amdhsa_round_robin_scheduling 0
		.amdhsa_exception_fp_ieee_invalid_op 0
		.amdhsa_exception_fp_denorm_src 0
		.amdhsa_exception_fp_ieee_div_zero 0
		.amdhsa_exception_fp_ieee_overflow 0
		.amdhsa_exception_fp_ieee_underflow 0
		.amdhsa_exception_fp_ieee_inexact 0
		.amdhsa_exception_int_div_zero 0
	.end_amdhsa_kernel
	.text
.Lfunc_end0:
	.size	_Z21binomialOptionsKernelPK13__TOptionDataPf, .Lfunc_end0-_Z21binomialOptionsKernelPK13__TOptionDataPf
                                        ; -- End function
	.set _Z21binomialOptionsKernelPK13__TOptionDataPf.num_vgpr, 64
	.set _Z21binomialOptionsKernelPK13__TOptionDataPf.num_agpr, 0
	.set _Z21binomialOptionsKernelPK13__TOptionDataPf.numbered_sgpr, 13
	.set _Z21binomialOptionsKernelPK13__TOptionDataPf.num_named_barrier, 0
	.set _Z21binomialOptionsKernelPK13__TOptionDataPf.private_seg_size, 0
	.set _Z21binomialOptionsKernelPK13__TOptionDataPf.uses_vcc, 1
	.set _Z21binomialOptionsKernelPK13__TOptionDataPf.uses_flat_scratch, 0
	.set _Z21binomialOptionsKernelPK13__TOptionDataPf.has_dyn_sized_stack, 0
	.set _Z21binomialOptionsKernelPK13__TOptionDataPf.has_recursion, 0
	.set _Z21binomialOptionsKernelPK13__TOptionDataPf.has_indirect_call, 0
	.section	.AMDGPU.csdata,"",@progbits
; Kernel info:
; codeLenInByte = 7036
; TotalNumSgprs: 15
; NumVgprs: 64
; ScratchSize: 0
; MemoryBound: 0
; FloatMode: 240
; IeeeMode: 1
; LDSByteSize: 516 bytes/workgroup (compile time only)
; SGPRBlocks: 0
; VGPRBlocks: 3
; NumSGPRsForWavesPerEU: 15
; NumVGPRsForWavesPerEU: 64
; NamedBarCnt: 0
; Occupancy: 16
; WaveLimiterHint : 0
; COMPUTE_PGM_RSRC2:SCRATCH_EN: 0
; COMPUTE_PGM_RSRC2:USER_SGPR: 2
; COMPUTE_PGM_RSRC2:TRAP_HANDLER: 0
; COMPUTE_PGM_RSRC2:TGID_X_EN: 1
; COMPUTE_PGM_RSRC2:TGID_Y_EN: 0
; COMPUTE_PGM_RSRC2:TGID_Z_EN: 0
; COMPUTE_PGM_RSRC2:TIDIG_COMP_CNT: 0
	.text
	.p2alignl 7, 3214868480
	.fill 96, 4, 3214868480
	.section	.AMDGPU.gpr_maximums,"",@progbits
	.set amdgpu.max_num_vgpr, 0
	.set amdgpu.max_num_agpr, 0
	.set amdgpu.max_num_sgpr, 0
	.text
	.type	__hip_cuid_ecc1888af6272f1a,@object ; @__hip_cuid_ecc1888af6272f1a
	.section	.bss,"aw",@nobits
	.globl	__hip_cuid_ecc1888af6272f1a
__hip_cuid_ecc1888af6272f1a:
	.byte	0                               ; 0x0
	.size	__hip_cuid_ecc1888af6272f1a, 1

	.ident	"AMD clang version 22.0.0git (https://github.com/RadeonOpenCompute/llvm-project roc-7.2.4 26084 f58b06dce1f9c15707c5f808fd002e18c2accf7e)"
	.section	".note.GNU-stack","",@progbits
	.addrsig
	.addrsig_sym __hip_cuid_ecc1888af6272f1a
	.amdgpu_metadata
---
amdhsa.kernels:
  - .args:
      - .actual_access:  read_only
        .address_space:  global
        .offset:         0
        .size:           8
        .value_kind:     global_buffer
      - .actual_access:  write_only
        .address_space:  global
        .offset:         8
        .size:           8
        .value_kind:     global_buffer
    .group_segment_fixed_size: 516
    .kernarg_segment_align: 8
    .kernarg_segment_size: 16
    .language:       OpenCL C
    .language_version:
      - 2
      - 0
    .max_flat_workgroup_size: 1024
    .name:           _Z21binomialOptionsKernelPK13__TOptionDataPf
    .private_segment_fixed_size: 0
    .sgpr_count:     15
    .sgpr_spill_count: 0
    .symbol:         _Z21binomialOptionsKernelPK13__TOptionDataPf.kd
    .uniform_work_group_size: 1
    .uses_dynamic_stack: false
    .vgpr_count:     64
    .vgpr_spill_count: 0
    .wavefront_size: 32
amdhsa.target:   amdgcn-amd-amdhsa--gfx1250
amdhsa.version:
  - 1
  - 2
...

	.end_amdgpu_metadata
